;; amdgpu-corpus repo=zjin-lcf/HeCBench kind=compiled arch=gfx906 opt=O3
	.amdgcn_target "amdgcn-amd-amdhsa--gfx906"
	.amdhsa_code_object_version 6
	.section	.text._Z27rmsnorm_fwd_two_scan_kernelIfLi4EEvPKT_S2_PS0_lf,"axG",@progbits,_Z27rmsnorm_fwd_two_scan_kernelIfLi4EEvPKT_S2_PS0_lf,comdat
	.protected	_Z27rmsnorm_fwd_two_scan_kernelIfLi4EEvPKT_S2_PS0_lf ; -- Begin function _Z27rmsnorm_fwd_two_scan_kernelIfLi4EEvPKT_S2_PS0_lf
	.globl	_Z27rmsnorm_fwd_two_scan_kernelIfLi4EEvPKT_S2_PS0_lf
	.p2align	8
	.type	_Z27rmsnorm_fwd_two_scan_kernelIfLi4EEvPKT_S2_PS0_lf,@function
_Z27rmsnorm_fwd_two_scan_kernelIfLi4EEvPKT_S2_PS0_lf: ; @_Z27rmsnorm_fwd_two_scan_kernelIfLi4EEvPKT_S2_PS0_lf
; %bb.0:
	s_load_dword s0, s[4:5], 0x34
	s_load_dwordx8 s[8:15], s[4:5], 0x0
	s_ashr_i32 s1, s6, 31
	v_lshlrev_b32_e32 v1, 2, v0
	v_mov_b32_e32 v2, 0
	s_waitcnt lgkmcnt(0)
	s_and_b32 s20, s0, 0xffff
	s_mul_hi_u32 s0, s14, s6
	s_mul_i32 s1, s14, s1
	s_add_i32 s0, s0, s1
	s_mul_i32 s1, s15, s6
	v_cmp_gt_i64_e32 vcc, s[14:15], v[1:2]
	s_add_i32 s7, s0, s1
	s_mul_i32 s6, s14, s6
	v_lshlrev_b32_e32 v7, 4, v0
	v_mov_b32_e32 v8, v2
	s_and_saveexec_b64 s[2:3], vcc
	s_cbranch_execz .LBB0_4
; %bb.1:
	s_lshl_b32 s18, s20, 2
	s_lshl_b64 s[0:1], s[6:7], 2
	s_add_u32 s0, s8, s0
	s_addc_u32 s1, s9, s1
	v_mov_b32_e32 v3, s1
	v_add_co_u32_e64 v4, s[0:1], s0, v7
	v_addc_co_u32_e64 v5, s[0:1], 0, v3, s[0:1]
	v_add_co_u32_e64 v3, s[0:1], 8, v4
	v_addc_co_u32_e64 v4, s[0:1], 0, v5, s[0:1]
	v_mov_b32_e32 v6, v2
	v_mov_b32_e32 v8, 0
	s_lshl_b32 s19, s20, 4
	s_mov_b64 s[16:17], 0
	v_mov_b32_e32 v5, v1
.LBB0_2:                                ; =>This Inner Loop Header: Depth=1
	global_load_dwordx4 v[9:12], v[3:4], off offset:-8
	v_add_co_u32_e64 v5, s[0:1], s18, v5
	v_addc_co_u32_e64 v6, s[0:1], 0, v6, s[0:1]
	v_add_co_u32_e64 v3, s[0:1], s19, v3
	v_addc_co_u32_e64 v4, s[0:1], 0, v4, s[0:1]
	v_cmp_le_i64_e64 s[0:1], s[14:15], v[5:6]
	s_or_b64 s[16:17], s[0:1], s[16:17]
	s_waitcnt vmcnt(0)
	v_fmac_f32_e32 v8, v9, v9
	v_fmac_f32_e32 v8, v10, v10
	;; [unrolled: 1-line block ×4, first 2 shown]
	s_andn2_b64 exec, exec, s[16:17]
	s_cbranch_execnz .LBB0_2
; %bb.3:
	s_or_b64 exec, exec, s[16:17]
.LBB0_4:
	s_or_b64 exec, exec, s[2:3]
	v_mbcnt_lo_u32_b32 v3, -1, 0
	v_mbcnt_hi_u32_b32 v9, -1, v3
	v_and_b32_e32 v3, 64, v9
	v_add_u32_e32 v10, 64, v3
	v_xor_b32_e32 v3, 32, v9
	v_cmp_lt_i32_e64 s[0:1], v3, v10
	v_cndmask_b32_e64 v3, v9, v3, s[0:1]
	v_lshlrev_b32_e32 v3, 2, v3
	ds_bpermute_b32 v4, v3, v8
	v_xor_b32_e32 v5, 16, v9
	v_cmp_lt_i32_e64 s[0:1], v5, v10
	v_xor_b32_e32 v11, 4, v9
	v_xor_b32_e32 v12, 2, v9
	s_waitcnt lgkmcnt(0)
	v_add_f32_e32 v6, v8, v4
	v_cndmask_b32_e64 v4, v9, v5, s[0:1]
	v_lshlrev_b32_e32 v4, 2, v4
	ds_bpermute_b32 v5, v4, v6
	v_xor_b32_e32 v8, 8, v9
	v_cmp_lt_i32_e64 s[0:1], v8, v10
	v_xor_b32_e32 v13, 1, v9
	s_waitcnt lgkmcnt(0)
	v_add_f32_e32 v6, v6, v5
	v_cndmask_b32_e64 v5, v9, v8, s[0:1]
	v_lshlrev_b32_e32 v5, 2, v5
	ds_bpermute_b32 v8, v5, v6
	v_cmp_lt_i32_e64 s[0:1], v11, v10
	s_waitcnt lgkmcnt(0)
	v_add_f32_e32 v8, v6, v8
	v_cndmask_b32_e64 v6, v9, v11, s[0:1]
	v_lshlrev_b32_e32 v6, 2, v6
	ds_bpermute_b32 v11, v6, v8
	v_cmp_lt_i32_e64 s[0:1], v12, v10
	s_waitcnt lgkmcnt(0)
	v_add_f32_e32 v11, v8, v11
	v_cndmask_b32_e64 v8, v9, v12, s[0:1]
	v_lshlrev_b32_e32 v8, 2, v8
	ds_bpermute_b32 v12, v8, v11
	v_cmp_lt_i32_e64 s[0:1], v13, v10
	v_cndmask_b32_e64 v9, v9, v13, s[0:1]
	v_lshlrev_b32_e32 v9, 2, v9
	v_and_b32_e32 v10, 63, v0
	s_waitcnt lgkmcnt(0)
	v_add_f32_e32 v11, v11, v12
	ds_bpermute_b32 v12, v9, v11
	v_cmp_eq_u32_e64 s[0:1], 0, v10
	s_and_saveexec_b64 s[2:3], s[0:1]
	s_cbranch_execz .LBB0_6
; %bb.5:
	s_waitcnt lgkmcnt(0)
	v_add_f32_e32 v11, v11, v12
	v_lshrrev_b32_e32 v12, 4, v0
	ds_write_b32 v12, v11
.LBB0_6:
	s_or_b64 exec, exec, s[2:3]
	v_cmp_gt_u32_e64 s[2:3], 64, v0
	s_waitcnt lgkmcnt(0)
	s_barrier
	s_and_saveexec_b64 s[16:17], s[2:3]
	s_cbranch_execz .LBB0_11
; %bb.7:
	s_add_i32 s2, s20, 63
	s_lshr_b32 s2, s2, 6
	v_cmp_gt_u32_e64 s[2:3], s2, v10
	v_mov_b32_e32 v0, 0
	s_and_saveexec_b64 s[18:19], s[2:3]
; %bb.8:
	v_lshlrev_b32_e32 v0, 2, v10
	ds_read_b32 v0, v0
; %bb.9:
	s_or_b64 exec, exec, s[18:19]
	s_waitcnt lgkmcnt(0)
	ds_bpermute_b32 v3, v3, v0
	s_waitcnt lgkmcnt(0)
	v_add_f32_e32 v0, v0, v3
	ds_bpermute_b32 v3, v4, v0
	s_waitcnt lgkmcnt(0)
	v_add_f32_e32 v0, v0, v3
	ds_bpermute_b32 v3, v5, v0
	s_waitcnt lgkmcnt(0)
	v_add_f32_e32 v0, v0, v3
	ds_bpermute_b32 v3, v6, v0
	s_waitcnt lgkmcnt(0)
	v_add_f32_e32 v0, v0, v3
	ds_bpermute_b32 v3, v8, v0
	s_waitcnt lgkmcnt(0)
	v_add_f32_e32 v0, v0, v3
	ds_bpermute_b32 v3, v9, v0
	s_and_b64 exec, exec, s[0:1]
	s_cbranch_execz .LBB0_11
; %bb.10:
	s_waitcnt lgkmcnt(0)
	v_add_f32_e32 v0, v0, v3
	v_mov_b32_e32 v3, 0
	ds_write_b32 v3, v0
.LBB0_11:
	s_or_b64 exec, exec, s[16:17]
	s_waitcnt lgkmcnt(0)
	s_barrier
	s_and_saveexec_b64 s[0:1], vcc
	s_cbranch_execz .LBB0_14
; %bb.12:
	s_xor_b32 s1, s14, s15
	s_flbit_i32 s0, s15
	s_ashr_i32 s1, s1, 31
	s_add_i32 s0, s0, -1
	s_add_i32 s1, s1, 32
	s_min_u32 s2, s0, s1
	s_lshl_b64 s[0:1], s[14:15], s2
	s_min_u32 s0, s0, 1
	v_mov_b32_e32 v0, 0
	s_or_b32 s0, s1, s0
	v_cvt_f32_i32_e32 v3, s0
	ds_read_b32 v0, v0
	s_sub_i32 s0, 32, s2
	s_load_dword s2, s[4:5], 0x20
	v_ldexp_f32 v3, v3, s0
	s_mov_b32 s3, 0x800000
	s_waitcnt lgkmcnt(0)
	v_div_scale_f32 v4, s[0:1], v3, v3, v0
	v_div_scale_f32 v5, vcc, v0, v3, v0
	s_lshl_b64 s[0:1], s[6:7], 2
	s_add_u32 s4, s8, s0
	s_addc_u32 s5, s9, s1
	s_add_u32 s6, s12, s0
	s_addc_u32 s7, s13, s1
	s_lshl_b32 s8, s20, 2
	s_lshl_b32 s9, s20, 4
	v_rcp_f32_e32 v6, v4
	v_fma_f32 v8, -v4, v6, 1.0
	v_fmac_f32_e32 v6, v8, v6
	v_mul_f32_e32 v8, v5, v6
	v_fma_f32 v9, -v4, v8, v5
	v_fmac_f32_e32 v8, v9, v6
	v_fma_f32 v4, -v4, v8, v5
	v_div_fmas_f32 v4, v4, v6, v8
	v_div_fixup_f32 v0, v4, v3, v0
	v_add_f32_e32 v0, s2, v0
	v_mul_f32_e32 v3, 0x4b800000, v0
	v_cmp_gt_f32_e32 vcc, s3, v0
	v_cndmask_b32_e32 v0, v0, v3, vcc
	v_rsq_f32_e32 v0, v0
	s_mov_b64 s[2:3], 0
	v_mul_f32_e32 v3, 0x45800000, v0
	v_cndmask_b32_e32 v0, v0, v3, vcc
.LBB0_13:                               ; =>This Inner Loop Header: Depth=1
	v_mov_b32_e32 v3, s5
	v_add_co_u32_e64 v14, s[0:1], s4, v7
	v_mov_b32_e32 v4, s11
	v_add_co_u32_e32 v12, vcc, s10, v7
	v_addc_co_u32_e64 v15, s[0:1], 0, v3, s[0:1]
	v_addc_co_u32_e32 v13, vcc, 0, v4, vcc
	global_load_dwordx4 v[3:6], v[14:15], off
	global_load_dwordx4 v[8:11], v[12:13], off
	v_add_co_u32_e32 v1, vcc, s8, v1
	s_add_u32 s4, s4, s9
	v_addc_co_u32_e32 v2, vcc, 0, v2, vcc
	s_addc_u32 s5, s5, 0
	v_mov_b32_e32 v13, s7
	v_add_co_u32_e32 v12, vcc, s6, v7
	s_add_u32 s6, s6, s9
	v_addc_co_u32_e32 v13, vcc, 0, v13, vcc
	s_addc_u32 s7, s7, 0
	v_cmp_le_i64_e32 vcc, s[14:15], v[1:2]
	s_add_u32 s10, s10, s9
	s_addc_u32 s11, s11, 0
	s_or_b64 s[2:3], vcc, s[2:3]
	s_waitcnt vmcnt(1)
	v_mul_f32_e32 v3, v0, v3
	v_mul_f32_e32 v4, v0, v4
	;; [unrolled: 1-line block ×4, first 2 shown]
	s_waitcnt vmcnt(0)
	v_mul_f32_e32 v3, v3, v8
	v_mul_f32_e32 v4, v4, v9
	;; [unrolled: 1-line block ×4, first 2 shown]
	global_store_dwordx4 v[12:13], v[3:6], off
	s_andn2_b64 exec, exec, s[2:3]
	s_cbranch_execnz .LBB0_13
.LBB0_14:
	s_endpgm
	.section	.rodata,"a",@progbits
	.p2align	6, 0x0
	.amdhsa_kernel _Z27rmsnorm_fwd_two_scan_kernelIfLi4EEvPKT_S2_PS0_lf
		.amdhsa_group_segment_fixed_size 64
		.amdhsa_private_segment_fixed_size 0
		.amdhsa_kernarg_size 296
		.amdhsa_user_sgpr_count 6
		.amdhsa_user_sgpr_private_segment_buffer 1
		.amdhsa_user_sgpr_dispatch_ptr 0
		.amdhsa_user_sgpr_queue_ptr 0
		.amdhsa_user_sgpr_kernarg_segment_ptr 1
		.amdhsa_user_sgpr_dispatch_id 0
		.amdhsa_user_sgpr_flat_scratch_init 0
		.amdhsa_user_sgpr_private_segment_size 0
		.amdhsa_uses_dynamic_stack 0
		.amdhsa_system_sgpr_private_segment_wavefront_offset 0
		.amdhsa_system_sgpr_workgroup_id_x 1
		.amdhsa_system_sgpr_workgroup_id_y 0
		.amdhsa_system_sgpr_workgroup_id_z 0
		.amdhsa_system_sgpr_workgroup_info 0
		.amdhsa_system_vgpr_workitem_id 0
		.amdhsa_next_free_vgpr 16
		.amdhsa_next_free_sgpr 21
		.amdhsa_reserve_vcc 1
		.amdhsa_reserve_flat_scratch 0
		.amdhsa_float_round_mode_32 0
		.amdhsa_float_round_mode_16_64 0
		.amdhsa_float_denorm_mode_32 3
		.amdhsa_float_denorm_mode_16_64 3
		.amdhsa_dx10_clamp 1
		.amdhsa_ieee_mode 1
		.amdhsa_fp16_overflow 0
		.amdhsa_exception_fp_ieee_invalid_op 0
		.amdhsa_exception_fp_denorm_src 0
		.amdhsa_exception_fp_ieee_div_zero 0
		.amdhsa_exception_fp_ieee_overflow 0
		.amdhsa_exception_fp_ieee_underflow 0
		.amdhsa_exception_fp_ieee_inexact 0
		.amdhsa_exception_int_div_zero 0
	.end_amdhsa_kernel
	.section	.text._Z27rmsnorm_fwd_two_scan_kernelIfLi4EEvPKT_S2_PS0_lf,"axG",@progbits,_Z27rmsnorm_fwd_two_scan_kernelIfLi4EEvPKT_S2_PS0_lf,comdat
.Lfunc_end0:
	.size	_Z27rmsnorm_fwd_two_scan_kernelIfLi4EEvPKT_S2_PS0_lf, .Lfunc_end0-_Z27rmsnorm_fwd_two_scan_kernelIfLi4EEvPKT_S2_PS0_lf
                                        ; -- End function
	.set _Z27rmsnorm_fwd_two_scan_kernelIfLi4EEvPKT_S2_PS0_lf.num_vgpr, 16
	.set _Z27rmsnorm_fwd_two_scan_kernelIfLi4EEvPKT_S2_PS0_lf.num_agpr, 0
	.set _Z27rmsnorm_fwd_two_scan_kernelIfLi4EEvPKT_S2_PS0_lf.numbered_sgpr, 21
	.set _Z27rmsnorm_fwd_two_scan_kernelIfLi4EEvPKT_S2_PS0_lf.num_named_barrier, 0
	.set _Z27rmsnorm_fwd_two_scan_kernelIfLi4EEvPKT_S2_PS0_lf.private_seg_size, 0
	.set _Z27rmsnorm_fwd_two_scan_kernelIfLi4EEvPKT_S2_PS0_lf.uses_vcc, 1
	.set _Z27rmsnorm_fwd_two_scan_kernelIfLi4EEvPKT_S2_PS0_lf.uses_flat_scratch, 0
	.set _Z27rmsnorm_fwd_two_scan_kernelIfLi4EEvPKT_S2_PS0_lf.has_dyn_sized_stack, 0
	.set _Z27rmsnorm_fwd_two_scan_kernelIfLi4EEvPKT_S2_PS0_lf.has_recursion, 0
	.set _Z27rmsnorm_fwd_two_scan_kernelIfLi4EEvPKT_S2_PS0_lf.has_indirect_call, 0
	.section	.AMDGPU.csdata,"",@progbits
; Kernel info:
; codeLenInByte = 1132
; TotalNumSgprs: 25
; NumVgprs: 16
; ScratchSize: 0
; MemoryBound: 0
; FloatMode: 240
; IeeeMode: 1
; LDSByteSize: 64 bytes/workgroup (compile time only)
; SGPRBlocks: 3
; VGPRBlocks: 3
; NumSGPRsForWavesPerEU: 25
; NumVGPRsForWavesPerEU: 16
; Occupancy: 10
; WaveLimiterHint : 0
; COMPUTE_PGM_RSRC2:SCRATCH_EN: 0
; COMPUTE_PGM_RSRC2:USER_SGPR: 6
; COMPUTE_PGM_RSRC2:TRAP_HANDLER: 0
; COMPUTE_PGM_RSRC2:TGID_X_EN: 1
; COMPUTE_PGM_RSRC2:TGID_Y_EN: 0
; COMPUTE_PGM_RSRC2:TGID_Z_EN: 0
; COMPUTE_PGM_RSRC2:TIDIG_COMP_CNT: 0
	.section	.text._Z27rmsnorm_fwd_two_scan_kernelIfLi1EEvPKT_S2_PS0_lf,"axG",@progbits,_Z27rmsnorm_fwd_two_scan_kernelIfLi1EEvPKT_S2_PS0_lf,comdat
	.protected	_Z27rmsnorm_fwd_two_scan_kernelIfLi1EEvPKT_S2_PS0_lf ; -- Begin function _Z27rmsnorm_fwd_two_scan_kernelIfLi1EEvPKT_S2_PS0_lf
	.globl	_Z27rmsnorm_fwd_two_scan_kernelIfLi1EEvPKT_S2_PS0_lf
	.p2align	8
	.type	_Z27rmsnorm_fwd_two_scan_kernelIfLi1EEvPKT_S2_PS0_lf,@function
_Z27rmsnorm_fwd_two_scan_kernelIfLi1EEvPKT_S2_PS0_lf: ; @_Z27rmsnorm_fwd_two_scan_kernelIfLi1EEvPKT_S2_PS0_lf
; %bb.0:
	s_load_dword s0, s[4:5], 0x34
	s_load_dwordx8 s[8:15], s[4:5], 0x0
	s_ashr_i32 s1, s6, 31
	v_mov_b32_e32 v1, 0
	v_lshlrev_b32_e32 v6, 2, v0
	s_waitcnt lgkmcnt(0)
	s_and_b32 s20, s0, 0xffff
	s_mul_hi_u32 s0, s14, s6
	s_mul_i32 s1, s14, s1
	s_add_i32 s0, s0, s1
	s_mul_i32 s1, s15, s6
	v_cmp_gt_i64_e32 vcc, s[14:15], v[0:1]
	s_add_i32 s7, s0, s1
	s_mul_i32 s6, s14, s6
	v_mov_b32_e32 v7, v1
	s_and_saveexec_b64 s[16:17], vcc
	s_cbranch_execz .LBB1_4
; %bb.1:
	s_lshl_b64 s[0:1], s[6:7], 2
	s_add_u32 s0, s8, s0
	s_addc_u32 s1, s9, s1
	v_mov_b32_e32 v3, s1
	v_add_co_u32_e64 v2, s[0:1], s0, v6
	v_mov_b32_e32 v5, v1
	v_mov_b32_e32 v7, 0
	v_addc_co_u32_e64 v3, s[0:1], 0, v3, s[0:1]
	s_lshl_b32 s21, s20, 2
	s_mov_b64 s[18:19], 0
	v_mov_b32_e32 v4, v0
.LBB1_2:                                ; =>This Inner Loop Header: Depth=1
	global_load_dword v8, v[2:3], off
	v_add_co_u32_e64 v4, s[0:1], s20, v4
	v_addc_co_u32_e64 v5, s[0:1], 0, v5, s[0:1]
	v_cmp_le_i64_e64 s[2:3], s[14:15], v[4:5]
	v_add_co_u32_e64 v2, s[0:1], s21, v2
	v_addc_co_u32_e64 v3, s[0:1], 0, v3, s[0:1]
	s_or_b64 s[18:19], s[2:3], s[18:19]
	s_waitcnt vmcnt(0)
	v_fmac_f32_e32 v7, v8, v8
	s_andn2_b64 exec, exec, s[18:19]
	s_cbranch_execnz .LBB1_2
; %bb.3:
	s_or_b64 exec, exec, s[18:19]
.LBB1_4:
	s_or_b64 exec, exec, s[16:17]
	v_mbcnt_lo_u32_b32 v2, -1, 0
	v_mbcnt_hi_u32_b32 v8, -1, v2
	v_and_b32_e32 v2, 64, v8
	v_add_u32_e32 v9, 64, v2
	v_xor_b32_e32 v2, 32, v8
	v_cmp_lt_i32_e64 s[0:1], v2, v9
	v_cndmask_b32_e64 v2, v8, v2, s[0:1]
	v_lshlrev_b32_e32 v2, 2, v2
	ds_bpermute_b32 v3, v2, v7
	v_xor_b32_e32 v4, 16, v8
	v_cmp_lt_i32_e64 s[0:1], v4, v9
	v_xor_b32_e32 v10, 4, v8
	v_xor_b32_e32 v11, 2, v8
	s_waitcnt lgkmcnt(0)
	v_add_f32_e32 v5, v7, v3
	v_cndmask_b32_e64 v3, v8, v4, s[0:1]
	v_lshlrev_b32_e32 v3, 2, v3
	ds_bpermute_b32 v4, v3, v5
	v_xor_b32_e32 v7, 8, v8
	v_cmp_lt_i32_e64 s[0:1], v7, v9
	v_xor_b32_e32 v12, 1, v8
	s_waitcnt lgkmcnt(0)
	v_add_f32_e32 v5, v5, v4
	v_cndmask_b32_e64 v4, v8, v7, s[0:1]
	v_lshlrev_b32_e32 v4, 2, v4
	ds_bpermute_b32 v7, v4, v5
	v_cmp_lt_i32_e64 s[0:1], v10, v9
	s_waitcnt lgkmcnt(0)
	v_add_f32_e32 v7, v5, v7
	v_cndmask_b32_e64 v5, v8, v10, s[0:1]
	v_lshlrev_b32_e32 v5, 2, v5
	ds_bpermute_b32 v10, v5, v7
	v_cmp_lt_i32_e64 s[0:1], v11, v9
	;; [unrolled: 6-line block ×3, first 2 shown]
	v_cndmask_b32_e64 v8, v8, v12, s[0:1]
	v_lshlrev_b32_e32 v8, 2, v8
	v_and_b32_e32 v9, 63, v0
	s_waitcnt lgkmcnt(0)
	v_add_f32_e32 v10, v10, v11
	ds_bpermute_b32 v11, v8, v10
	v_cmp_eq_u32_e64 s[0:1], 0, v9
	s_and_saveexec_b64 s[2:3], s[0:1]
	s_cbranch_execz .LBB1_6
; %bb.5:
	s_waitcnt lgkmcnt(0)
	v_add_f32_e32 v10, v10, v11
	v_lshrrev_b32_e32 v11, 4, v0
	ds_write_b32 v11, v10
.LBB1_6:
	s_or_b64 exec, exec, s[2:3]
	v_cmp_gt_u32_e64 s[2:3], 64, v0
	s_waitcnt lgkmcnt(0)
	s_barrier
	s_and_saveexec_b64 s[16:17], s[2:3]
	s_cbranch_execz .LBB1_11
; %bb.7:
	s_add_i32 s2, s20, 63
	s_lshr_b32 s2, s2, 6
	v_cmp_gt_u32_e64 s[2:3], s2, v9
	v_mov_b32_e32 v10, 0
	s_and_saveexec_b64 s[18:19], s[2:3]
; %bb.8:
	v_lshlrev_b32_e32 v9, 2, v9
	ds_read_b32 v10, v9
; %bb.9:
	s_or_b64 exec, exec, s[18:19]
	s_waitcnt lgkmcnt(0)
	ds_bpermute_b32 v2, v2, v10
	s_waitcnt lgkmcnt(0)
	v_add_f32_e32 v2, v10, v2
	ds_bpermute_b32 v3, v3, v2
	s_waitcnt lgkmcnt(0)
	v_add_f32_e32 v2, v2, v3
	;; [unrolled: 3-line block ×5, first 2 shown]
	ds_bpermute_b32 v3, v8, v2
	s_and_b64 exec, exec, s[0:1]
	s_cbranch_execz .LBB1_11
; %bb.10:
	s_waitcnt lgkmcnt(0)
	v_add_f32_e32 v2, v2, v3
	v_mov_b32_e32 v3, 0
	ds_write_b32 v3, v2
.LBB1_11:
	s_or_b64 exec, exec, s[16:17]
	s_waitcnt lgkmcnt(0)
	s_barrier
	s_and_saveexec_b64 s[0:1], vcc
	s_cbranch_execz .LBB1_14
; %bb.12:
	s_xor_b32 s1, s14, s15
	s_flbit_i32 s0, s15
	s_ashr_i32 s1, s1, 31
	s_add_i32 s0, s0, -1
	s_add_i32 s1, s1, 32
	s_min_u32 s2, s0, s1
	s_lshl_b64 s[0:1], s[14:15], s2
	s_min_u32 s0, s0, 1
	v_mov_b32_e32 v2, 0
	s_or_b32 s0, s1, s0
	v_cvt_f32_i32_e32 v3, s0
	ds_read_b32 v4, v2
	s_sub_i32 s0, 32, s2
	s_load_dword s16, s[4:5], 0x20
	v_ldexp_f32 v5, v3, s0
	s_mov_b32 s17, 0x800000
	s_waitcnt lgkmcnt(0)
	v_div_scale_f32 v3, s[0:1], v5, v5, v4
	v_div_scale_f32 v7, vcc, v4, v5, v4
	s_lshl_b64 s[4:5], s[6:7], 2
	s_add_u32 s2, s8, s4
	s_addc_u32 s6, s9, s5
	s_add_u32 s3, s12, s4
	s_addc_u32 s5, s13, s5
	s_mov_b64 s[0:1], 0
	s_lshl_b32 s4, s20, 2
	v_rcp_f32_e32 v8, v3
	v_fma_f32 v9, -v3, v8, 1.0
	v_fmac_f32_e32 v8, v9, v8
	v_mul_f32_e32 v9, v7, v8
	v_fma_f32 v10, -v3, v9, v7
	v_fmac_f32_e32 v9, v10, v8
	v_fma_f32 v3, -v3, v9, v7
	v_div_fmas_f32 v7, v3, v8, v9
	v_mov_b32_e32 v3, s11
	v_div_fixup_f32 v4, v7, v5, v4
	v_add_f32_e32 v4, s16, v4
	v_mul_f32_e32 v5, 0x4b800000, v4
	v_cmp_gt_f32_e32 vcc, s17, v4
	v_cndmask_b32_e32 v4, v4, v5, vcc
	v_rsq_f32_e32 v5, v4
	v_mov_b32_e32 v4, s6
	v_mul_f32_e32 v7, 0x45800000, v5
	v_cndmask_b32_e32 v5, v5, v7, vcc
	v_mov_b32_e32 v7, s5
.LBB1_13:                               ; =>This Inner Loop Header: Depth=1
	v_add_co_u32_e32 v8, vcc, s2, v6
	v_addc_co_u32_e32 v9, vcc, v4, v2, vcc
	v_add_co_u32_e32 v10, vcc, s10, v6
	v_addc_co_u32_e32 v11, vcc, v3, v2, vcc
	global_load_dword v12, v[8:9], off
	global_load_dword v13, v[10:11], off
	v_add_co_u32_e32 v8, vcc, s3, v6
	v_addc_co_u32_e32 v9, vcc, v7, v2, vcc
	v_add_co_u32_e32 v0, vcc, s20, v0
	v_addc_co_u32_e32 v1, vcc, 0, v1, vcc
	;; [unrolled: 2-line block ×3, first 2 shown]
	v_cmp_le_i64_e32 vcc, s[14:15], v[0:1]
	s_or_b64 s[0:1], vcc, s[0:1]
	s_waitcnt vmcnt(1)
	v_mul_f32_e32 v10, v5, v12
	s_waitcnt vmcnt(0)
	v_mul_f32_e32 v10, v10, v13
	global_store_dword v[8:9], v10, off
	s_andn2_b64 exec, exec, s[0:1]
	s_cbranch_execnz .LBB1_13
.LBB1_14:
	s_endpgm
	.section	.rodata,"a",@progbits
	.p2align	6, 0x0
	.amdhsa_kernel _Z27rmsnorm_fwd_two_scan_kernelIfLi1EEvPKT_S2_PS0_lf
		.amdhsa_group_segment_fixed_size 64
		.amdhsa_private_segment_fixed_size 0
		.amdhsa_kernarg_size 296
		.amdhsa_user_sgpr_count 6
		.amdhsa_user_sgpr_private_segment_buffer 1
		.amdhsa_user_sgpr_dispatch_ptr 0
		.amdhsa_user_sgpr_queue_ptr 0
		.amdhsa_user_sgpr_kernarg_segment_ptr 1
		.amdhsa_user_sgpr_dispatch_id 0
		.amdhsa_user_sgpr_flat_scratch_init 0
		.amdhsa_user_sgpr_private_segment_size 0
		.amdhsa_uses_dynamic_stack 0
		.amdhsa_system_sgpr_private_segment_wavefront_offset 0
		.amdhsa_system_sgpr_workgroup_id_x 1
		.amdhsa_system_sgpr_workgroup_id_y 0
		.amdhsa_system_sgpr_workgroup_id_z 0
		.amdhsa_system_sgpr_workgroup_info 0
		.amdhsa_system_vgpr_workitem_id 0
		.amdhsa_next_free_vgpr 14
		.amdhsa_next_free_sgpr 22
		.amdhsa_reserve_vcc 1
		.amdhsa_reserve_flat_scratch 0
		.amdhsa_float_round_mode_32 0
		.amdhsa_float_round_mode_16_64 0
		.amdhsa_float_denorm_mode_32 3
		.amdhsa_float_denorm_mode_16_64 3
		.amdhsa_dx10_clamp 1
		.amdhsa_ieee_mode 1
		.amdhsa_fp16_overflow 0
		.amdhsa_exception_fp_ieee_invalid_op 0
		.amdhsa_exception_fp_denorm_src 0
		.amdhsa_exception_fp_ieee_div_zero 0
		.amdhsa_exception_fp_ieee_overflow 0
		.amdhsa_exception_fp_ieee_underflow 0
		.amdhsa_exception_fp_ieee_inexact 0
		.amdhsa_exception_int_div_zero 0
	.end_amdhsa_kernel
	.section	.text._Z27rmsnorm_fwd_two_scan_kernelIfLi1EEvPKT_S2_PS0_lf,"axG",@progbits,_Z27rmsnorm_fwd_two_scan_kernelIfLi1EEvPKT_S2_PS0_lf,comdat
.Lfunc_end1:
	.size	_Z27rmsnorm_fwd_two_scan_kernelIfLi1EEvPKT_S2_PS0_lf, .Lfunc_end1-_Z27rmsnorm_fwd_two_scan_kernelIfLi1EEvPKT_S2_PS0_lf
                                        ; -- End function
	.set _Z27rmsnorm_fwd_two_scan_kernelIfLi1EEvPKT_S2_PS0_lf.num_vgpr, 14
	.set _Z27rmsnorm_fwd_two_scan_kernelIfLi1EEvPKT_S2_PS0_lf.num_agpr, 0
	.set _Z27rmsnorm_fwd_two_scan_kernelIfLi1EEvPKT_S2_PS0_lf.numbered_sgpr, 22
	.set _Z27rmsnorm_fwd_two_scan_kernelIfLi1EEvPKT_S2_PS0_lf.num_named_barrier, 0
	.set _Z27rmsnorm_fwd_two_scan_kernelIfLi1EEvPKT_S2_PS0_lf.private_seg_size, 0
	.set _Z27rmsnorm_fwd_two_scan_kernelIfLi1EEvPKT_S2_PS0_lf.uses_vcc, 1
	.set _Z27rmsnorm_fwd_two_scan_kernelIfLi1EEvPKT_S2_PS0_lf.uses_flat_scratch, 0
	.set _Z27rmsnorm_fwd_two_scan_kernelIfLi1EEvPKT_S2_PS0_lf.has_dyn_sized_stack, 0
	.set _Z27rmsnorm_fwd_two_scan_kernelIfLi1EEvPKT_S2_PS0_lf.has_recursion, 0
	.set _Z27rmsnorm_fwd_two_scan_kernelIfLi1EEvPKT_S2_PS0_lf.has_indirect_call, 0
	.section	.AMDGPU.csdata,"",@progbits
; Kernel info:
; codeLenInByte = 1044
; TotalNumSgprs: 26
; NumVgprs: 14
; ScratchSize: 0
; MemoryBound: 0
; FloatMode: 240
; IeeeMode: 1
; LDSByteSize: 64 bytes/workgroup (compile time only)
; SGPRBlocks: 3
; VGPRBlocks: 3
; NumSGPRsForWavesPerEU: 26
; NumVGPRsForWavesPerEU: 14
; Occupancy: 10
; WaveLimiterHint : 0
; COMPUTE_PGM_RSRC2:SCRATCH_EN: 0
; COMPUTE_PGM_RSRC2:USER_SGPR: 6
; COMPUTE_PGM_RSRC2:TRAP_HANDLER: 0
; COMPUTE_PGM_RSRC2:TGID_X_EN: 1
; COMPUTE_PGM_RSRC2:TGID_Y_EN: 0
; COMPUTE_PGM_RSRC2:TGID_Z_EN: 0
; COMPUTE_PGM_RSRC2:TIDIG_COMP_CNT: 0
	.section	.AMDGPU.gpr_maximums,"",@progbits
	.set amdgpu.max_num_vgpr, 0
	.set amdgpu.max_num_agpr, 0
	.set amdgpu.max_num_sgpr, 0
	.section	.AMDGPU.csdata,"",@progbits
	.type	__hip_cuid_a1f2bd2f23bfde62,@object ; @__hip_cuid_a1f2bd2f23bfde62
	.section	.bss,"aw",@nobits
	.globl	__hip_cuid_a1f2bd2f23bfde62
__hip_cuid_a1f2bd2f23bfde62:
	.byte	0                               ; 0x0
	.size	__hip_cuid_a1f2bd2f23bfde62, 1

	.ident	"AMD clang version 22.0.0git (https://github.com/RadeonOpenCompute/llvm-project roc-7.2.4 26084 f58b06dce1f9c15707c5f808fd002e18c2accf7e)"
	.section	".note.GNU-stack","",@progbits
	.addrsig
	.addrsig_sym __hip_cuid_a1f2bd2f23bfde62
	.amdgpu_metadata
---
amdhsa.kernels:
  - .args:
      - .actual_access:  read_only
        .address_space:  global
        .offset:         0
        .size:           8
        .value_kind:     global_buffer
      - .actual_access:  read_only
        .address_space:  global
        .offset:         8
        .size:           8
        .value_kind:     global_buffer
      - .address_space:  global
        .offset:         16
        .size:           8
        .value_kind:     global_buffer
      - .offset:         24
        .size:           8
        .value_kind:     by_value
      - .offset:         32
        .size:           4
        .value_kind:     by_value
      - .offset:         40
        .size:           4
        .value_kind:     hidden_block_count_x
      - .offset:         44
        .size:           4
        .value_kind:     hidden_block_count_y
      - .offset:         48
        .size:           4
        .value_kind:     hidden_block_count_z
      - .offset:         52
        .size:           2
        .value_kind:     hidden_group_size_x
      - .offset:         54
        .size:           2
        .value_kind:     hidden_group_size_y
      - .offset:         56
        .size:           2
        .value_kind:     hidden_group_size_z
      - .offset:         58
        .size:           2
        .value_kind:     hidden_remainder_x
      - .offset:         60
        .size:           2
        .value_kind:     hidden_remainder_y
      - .offset:         62
        .size:           2
        .value_kind:     hidden_remainder_z
      - .offset:         80
        .size:           8
        .value_kind:     hidden_global_offset_x
      - .offset:         88
        .size:           8
        .value_kind:     hidden_global_offset_y
      - .offset:         96
        .size:           8
        .value_kind:     hidden_global_offset_z
      - .offset:         104
        .size:           2
        .value_kind:     hidden_grid_dims
    .group_segment_fixed_size: 64
    .kernarg_segment_align: 8
    .kernarg_segment_size: 296
    .language:       OpenCL C
    .language_version:
      - 2
      - 0
    .max_flat_workgroup_size: 1024
    .name:           _Z27rmsnorm_fwd_two_scan_kernelIfLi4EEvPKT_S2_PS0_lf
    .private_segment_fixed_size: 0
    .sgpr_count:     25
    .sgpr_spill_count: 0
    .symbol:         _Z27rmsnorm_fwd_two_scan_kernelIfLi4EEvPKT_S2_PS0_lf.kd
    .uniform_work_group_size: 1
    .uses_dynamic_stack: false
    .vgpr_count:     16
    .vgpr_spill_count: 0
    .wavefront_size: 64
  - .args:
      - .actual_access:  read_only
        .address_space:  global
        .offset:         0
        .size:           8
        .value_kind:     global_buffer
      - .actual_access:  read_only
        .address_space:  global
        .offset:         8
        .size:           8
        .value_kind:     global_buffer
      - .address_space:  global
        .offset:         16
        .size:           8
        .value_kind:     global_buffer
      - .offset:         24
        .size:           8
        .value_kind:     by_value
      - .offset:         32
        .size:           4
        .value_kind:     by_value
      - .offset:         40
        .size:           4
        .value_kind:     hidden_block_count_x
      - .offset:         44
        .size:           4
        .value_kind:     hidden_block_count_y
      - .offset:         48
        .size:           4
        .value_kind:     hidden_block_count_z
      - .offset:         52
        .size:           2
        .value_kind:     hidden_group_size_x
      - .offset:         54
        .size:           2
        .value_kind:     hidden_group_size_y
      - .offset:         56
        .size:           2
        .value_kind:     hidden_group_size_z
      - .offset:         58
        .size:           2
        .value_kind:     hidden_remainder_x
      - .offset:         60
        .size:           2
        .value_kind:     hidden_remainder_y
      - .offset:         62
        .size:           2
        .value_kind:     hidden_remainder_z
      - .offset:         80
        .size:           8
        .value_kind:     hidden_global_offset_x
      - .offset:         88
        .size:           8
        .value_kind:     hidden_global_offset_y
      - .offset:         96
        .size:           8
        .value_kind:     hidden_global_offset_z
      - .offset:         104
        .size:           2
        .value_kind:     hidden_grid_dims
    .group_segment_fixed_size: 64
    .kernarg_segment_align: 8
    .kernarg_segment_size: 296
    .language:       OpenCL C
    .language_version:
      - 2
      - 0
    .max_flat_workgroup_size: 1024
    .name:           _Z27rmsnorm_fwd_two_scan_kernelIfLi1EEvPKT_S2_PS0_lf
    .private_segment_fixed_size: 0
    .sgpr_count:     26
    .sgpr_spill_count: 0
    .symbol:         _Z27rmsnorm_fwd_two_scan_kernelIfLi1EEvPKT_S2_PS0_lf.kd
    .uniform_work_group_size: 1
    .uses_dynamic_stack: false
    .vgpr_count:     14
    .vgpr_spill_count: 0
    .wavefront_size: 64
amdhsa.target:   amdgcn-amd-amdhsa--gfx906
amdhsa.version:
  - 1
  - 2
...

	.end_amdgpu_metadata
